;; amdgpu-corpus repo=ROCm/rocm-examples kind=compiled arch=gfx1201 opt=O3
	.amdgcn_target "amdgcn-amd-amdhsa--gfx1201"
	.amdhsa_code_object_version 6
	.text
	.protected	_Z14gemm_rocwmma_djjjPKdS0_S0_Pdjjjjdd ; -- Begin function _Z14gemm_rocwmma_djjjPKdS0_S0_Pdjjjjdd
	.globl	_Z14gemm_rocwmma_djjjPKdS0_S0_Pdjjjjdd
	.p2align	8
	.type	_Z14gemm_rocwmma_djjjPKdS0_S0_Pdjjjjdd,@function
_Z14gemm_rocwmma_djjjPKdS0_S0_Pdjjjjdd: ; @_Z14gemm_rocwmma_djjjPKdS0_S0_Pdjjjjdd
; %bb.0:
	s_load_b96 s[16:18], s[0:1], 0x0
	v_and_b32_e32 v2, 0xe0, v0
	v_bfe_u32 v1, v0, 10, 10
	s_lshl_b32 s20, ttmp9, 7
	s_lshl_b32 s22, ttmp7, 6
	s_delay_alu instid0(VALU_DEP_2) | instskip(NEXT) | instid1(VALU_DEP_2)
	v_add_nc_u32_e32 v7, s20, v2
	v_lshl_add_u32 v2, v1, 5, s22
	s_delay_alu instid0(VALU_DEP_2) | instskip(NEXT) | instid1(VALU_DEP_2)
	v_add_nc_u32_e32 v3, 32, v7
	v_add_nc_u32_e32 v4, 32, v2
	s_wait_kmcnt 0x0
	s_delay_alu instid0(VALU_DEP_2) | instskip(NEXT) | instid1(VALU_DEP_2)
	v_cmp_ge_u32_e32 vcc_lo, s16, v3
	v_cmp_ge_u32_e64 s2, s17, v4
	s_and_b32 s2, vcc_lo, s2
	s_delay_alu instid0(SALU_CYCLE_1)
	s_and_saveexec_b32 s3, s2
	s_cbranch_execz .LBB0_5
; %bb.1:
	v_and_b32_e32 v8, 0x3ff, v0
	s_clause 0x1
	s_load_b128 s[12:15], s[0:1], 0x30
	s_load_b256 s[4:11], s[0:1], 0x10
	s_mov_b32 s21, 0
	s_wait_alu 0xfffe
	s_lshl_b64 s[2:3], s[20:21], 3
	v_lshrrev_b32_e32 v0, 4, v8
	v_lshlrev_b32_e32 v3, 3, v8
	v_bfe_u32 v4, v8, 4, 1
	s_mov_b32 s23, s21
	s_delay_alu instid0(VALU_DEP_3) | instskip(NEXT) | instid1(VALU_DEP_3)
	v_and_b32_e32 v0, 62, v0
	v_and_b32_e32 v9, 0x78, v3
	s_wait_alu 0xfffe
	s_lshl_b64 s[16:17], s[22:23], 3
	s_cmp_lt_u32 s18, 17
	v_add_nc_u32_e32 v0, v0, v1
	v_lshlrev_b32_e32 v1, 2, v8
	s_delay_alu instid0(VALU_DEP_2) | instskip(NEXT) | instid1(VALU_DEP_2)
	v_lshl_or_b32 v35, v0, 1, v4
	v_and_b32_e32 v34, 60, v1
	s_wait_kmcnt 0x0
	s_add_nc_u64 s[2:3], s[4:5], s[2:3]
	s_wait_alu 0xfffe
	s_add_nc_u64 s[16:17], s[6:7], s[16:17]
	v_mad_co_u64_u32 v[0:1], null, s12, v35, v[9:10]
	v_mov_b32_e32 v1, 0
	v_mad_co_u64_u32 v[5:6], null, s13, v35, v[34:35]
	v_mul_u32_u24_e32 v36, 0xc0, v35
	s_delay_alu instid0(VALU_DEP_3) | instskip(SKIP_2) | instid1(VALU_DEP_4)
	v_mov_b32_e32 v6, v1
	v_lshlrev_b64_e32 v[3:4], 3, v[0:1]
	v_mad_u32_u24 v0, 0xc0, v35, v9
	v_or_b32_e32 v9, v36, v34
	s_delay_alu instid0(VALU_DEP_4) | instskip(NEXT) | instid1(VALU_DEP_4)
	v_lshlrev_b64_e32 v[5:6], 3, v[5:6]
	v_add_co_u32 v22, vcc_lo, s2, v3
	s_delay_alu instid0(VALU_DEP_1) | instskip(SKIP_1) | instid1(VALU_DEP_3)
	v_add_co_ci_u32_e64 v23, null, s3, v4, vcc_lo
	s_wait_alu 0xfffe
	v_add_co_u32 v30, vcc_lo, s16, v5
	s_wait_alu 0xfffd
	v_add_co_ci_u32_e64 v31, null, s17, v6, vcc_lo
	s_clause 0x3
	global_load_b128 v[10:13], v[22:23], off offset:48
	global_load_b128 v[14:17], v[22:23], off offset:32
	;; [unrolled: 1-line block ×3, first 2 shown]
	global_load_b128 v[22:25], v[22:23], off
	s_clause 0x1
	global_load_b128 v[26:29], v[30:31], off offset:16
	global_load_b128 v[30:33], v[30:31], off
	v_lshl_add_u32 v34, v0, 3, 0
	v_lshl_add_u32 v35, v9, 3, 0
	s_wait_loadcnt 0x5
	ds_store_b128 v34, v[10:13] offset:48
	s_wait_loadcnt 0x4
	ds_store_b128 v34, v[14:17] offset:32
	;; [unrolled: 2-line block ×3, first 2 shown]
	s_wait_loadcnt 0x2
	ds_store_b128 v34, v[22:25]
	s_wait_loadcnt 0x1
	ds_store_b128 v35, v[26:29] offset:1040
	s_wait_loadcnt 0x0
	ds_store_b128 v35, v[30:33] offset:1024
	s_wait_dscnt 0x0
	s_barrier_signal -1
	s_barrier_wait -1
	global_inv scope:SCOPE_SE
	s_cbranch_scc1 .LBB0_4
; %bb.2:
	v_add_co_u32 v3, vcc_lo, s4, v3
	s_wait_alu 0xfffd
	v_add_co_ci_u32_e64 v4, null, s5, v4, vcc_lo
	v_add_co_u32 v5, vcc_lo, s6, v5
	s_wait_alu 0xfffd
	v_add_co_ci_u32_e64 v6, null, s7, v6, vcc_lo
	s_lshl_b32 s12, s12, 4
	s_lshl_b32 s13, s13, 4
	s_wait_alu 0xfffe
	s_add_co_i32 s20, s20, s12
	s_add_co_i32 s5, 0, 0x6000
	;; [unrolled: 1-line block ×3, first 2 shown]
	s_mov_b32 s4, 16
	s_mov_b32 s6, s21
.LBB0_3:                                ; =>This Inner Loop Header: Depth=1
	s_wait_alu 0xfffe
	s_lshl_b64 s[16:17], s[20:21], 3
	s_mov_b32 s3, s21
	s_wait_alu 0xfffe
	v_add_co_u32 v22, vcc_lo, v3, s16
	s_wait_alu 0xfffd
	v_add_co_ci_u32_e64 v23, null, s17, v4, vcc_lo
	s_lshl_b64 s[16:17], s[2:3], 3
	v_lshl_add_u32 v34, v0, 3, s5
	s_wait_alu 0xfffe
	v_add_co_u32 v30, vcc_lo, v5, s16
	s_wait_alu 0xfffd
	v_add_co_ci_u32_e64 v31, null, s17, v6, vcc_lo
	s_clause 0x3
	global_load_b128 v[10:13], v[22:23], off offset:48
	global_load_b128 v[14:17], v[22:23], off offset:32
	global_load_b128 v[18:21], v[22:23], off offset:16
	global_load_b128 v[22:25], v[22:23], off
	s_clause 0x1
	global_load_b128 v[26:29], v[30:31], off offset:16
	global_load_b128 v[30:33], v[30:31], off
	s_mov_b32 s3, s6
	s_add_co_i32 s4, s4, 16
	s_add_co_i32 s20, s20, s12
	;; [unrolled: 1-line block ×3, first 2 shown]
	v_lshl_add_u32 v35, v9, 3, s5
	s_mov_b32 s6, s5
	s_wait_alu 0xfffe
	s_mov_b32 s5, s3
	s_cmp_ge_u32 s4, s18
	s_wait_loadcnt 0x5
	ds_store_b128 v34, v[10:13] offset:48
	s_wait_loadcnt 0x4
	ds_store_b128 v34, v[14:17] offset:32
	;; [unrolled: 2-line block ×3, first 2 shown]
	s_wait_loadcnt 0x2
	ds_store_b128 v34, v[22:25]
	s_wait_loadcnt 0x1
	ds_store_b128 v35, v[26:29] offset:1040
	s_wait_loadcnt 0x0
	ds_store_b128 v35, v[30:33] offset:1024
	s_wait_dscnt 0x0
	s_barrier_signal -1
	s_barrier_wait -1
	global_inv scope:SCOPE_SE
	s_cbranch_scc0 .LBB0_3
.LBB0_4:
	v_lshlrev_b32_e32 v0, 1, v8
	v_and_b32_e32 v71, 16, v8
	v_mad_co_u64_u32 v[3:4], null, s14, v7, v[2:3]
	v_mov_b32_e32 v4, v1
	s_delay_alu instid0(VALU_DEP_4) | instskip(SKIP_1) | instid1(VALU_DEP_2)
	v_and_b32_e32 v68, 30, v0
	s_load_b128 s[0:3], s[0:1], 0x40
	v_lshlrev_b64_e32 v[3:4], 3, v[3:4]
	s_delay_alu instid0(VALU_DEP_2) | instskip(SKIP_1) | instid1(VALU_DEP_3)
	v_mad_co_u64_u32 v[5:6], null, s14, v71, v[68:69]
	v_mov_b32_e32 v6, v1
	v_add_co_u32 v64, vcc_lo, s8, v3
	s_wait_alu 0xfffd
	s_delay_alu instid0(VALU_DEP_4) | instskip(NEXT) | instid1(VALU_DEP_4)
	v_add_co_ci_u32_e64 v65, null, s9, v4, vcc_lo
	v_add_nc_u32_e32 v0, s14, v5
	v_lshlrev_b64_e32 v[8:9], 3, v[5:6]
	s_delay_alu instid0(VALU_DEP_2) | instskip(SKIP_1) | instid1(VALU_DEP_3)
	v_lshlrev_b64_e32 v[3:4], 3, v[0:1]
	v_add_nc_u32_e32 v0, s14, v0
	v_add_co_u32 v5, vcc_lo, v64, v8
	s_wait_alu 0xfffd
	s_delay_alu instid0(VALU_DEP_4) | instskip(NEXT) | instid1(VALU_DEP_4)
	v_add_co_ci_u32_e64 v6, null, v65, v9, vcc_lo
	v_add_co_u32 v8, vcc_lo, v64, v3
	s_wait_alu 0xfffd
	v_add_co_ci_u32_e64 v9, null, v65, v4, vcc_lo
	s_clause 0x1
	global_load_b128 v[3:6], v[5:6], off
	global_load_b128 v[8:11], v[8:9], off
	v_lshlrev_b64_e32 v[12:13], 3, v[0:1]
	v_add_nc_u32_e32 v0, s14, v0
	s_delay_alu instid0(VALU_DEP_1) | instskip(SKIP_1) | instid1(VALU_DEP_4)
	v_lshlrev_b64_e32 v[14:15], 3, v[0:1]
	v_add_nc_u32_e32 v0, s14, v0
	v_add_co_u32 v12, vcc_lo, v64, v12
	s_wait_alu 0xfffd
	v_add_co_ci_u32_e64 v13, null, v65, v13, vcc_lo
	s_delay_alu instid0(VALU_DEP_3) | instskip(SKIP_4) | instid1(VALU_DEP_3)
	v_lshlrev_b64_e32 v[16:17], 3, v[0:1]
	v_add_nc_u32_e32 v0, s14, v0
	v_add_co_u32 v18, vcc_lo, v64, v14
	s_wait_alu 0xfffd
	v_add_co_ci_u32_e64 v19, null, v65, v15, vcc_lo
	v_lshlrev_b64_e32 v[14:15], 3, v[0:1]
	v_add_nc_u32_e32 v0, s14, v0
	v_add_co_u32 v20, vcc_lo, v64, v16
	s_wait_alu 0xfffd
	v_add_co_ci_u32_e64 v21, null, v65, v17, vcc_lo
	s_delay_alu instid0(VALU_DEP_3) | instskip(SKIP_4) | instid1(VALU_DEP_3)
	v_lshlrev_b64_e32 v[28:29], 3, v[0:1]
	v_add_nc_u32_e32 v0, s14, v0
	v_add_co_u32 v24, vcc_lo, v64, v14
	s_wait_alu 0xfffd
	v_add_co_ci_u32_e64 v25, null, v65, v15, vcc_lo
	;; [unrolled: 11-line block ×4, first 2 shown]
	v_lshlrev_b64_e32 v[48:49], 3, v[0:1]
	v_add_nc_u32_e32 v0, s14, v0
	v_add_co_u32 v44, vcc_lo, v64, v32
	s_wait_alu 0xfffd
	v_add_co_ci_u32_e64 v45, null, v65, v33, vcc_lo
	s_delay_alu instid0(VALU_DEP_3)
	v_lshlrev_b64_e32 v[50:51], 3, v[0:1]
	v_add_nc_u32_e32 v0, s14, v0
	s_clause 0x8
	global_load_b128 v[12:15], v[12:13], off
	global_load_b128 v[16:19], v[18:19], off
	;; [unrolled: 1-line block ×9, first 2 shown]
	v_add_co_u32 v48, vcc_lo, v64, v48
	v_lshlrev_b64_e32 v[56:57], 3, v[0:1]
	v_add_nc_u32_e32 v0, s14, v0
	s_wait_alu 0xfffd
	v_add_co_ci_u32_e64 v49, null, v65, v49, vcc_lo
	v_add_co_u32 v52, vcc_lo, v64, v50
	s_delay_alu instid0(VALU_DEP_3) | instskip(SKIP_4) | instid1(VALU_DEP_3)
	v_lshlrev_b64_e32 v[58:59], 3, v[0:1]
	v_add_nc_u32_e32 v0, s14, v0
	s_wait_alu 0xfffd
	v_add_co_ci_u32_e64 v53, null, v65, v51, vcc_lo
	v_add_co_u32 v56, vcc_lo, v64, v56
	v_lshlrev_b64_e32 v[60:61], 3, v[0:1]
	s_wait_alu 0xfffd
	v_add_co_ci_u32_e64 v57, null, v65, v57, vcc_lo
	v_add_co_u32 v62, vcc_lo, v64, v58
	s_wait_alu 0xfffd
	v_add_co_ci_u32_e64 v63, null, v65, v59, vcc_lo
	v_add_co_u32 v64, vcc_lo, v64, v60
	s_clause 0x1
	global_load_b128 v[48:51], v[48:49], off
	global_load_b128 v[52:55], v[52:53], off
	s_wait_alu 0xfffd
	v_add_co_ci_u32_e64 v65, null, v65, v61, vcc_lo
	s_clause 0x2
	global_load_b128 v[56:59], v[56:57], off
	global_load_b128 v[60:63], v[62:63], off
	;; [unrolled: 1-line block ×3, first 2 shown]
	s_wait_loadcnt 0xf
	v_mad_co_u64_u32 v[69:70], null, s15, v7, v[2:3]
	v_mov_b32_e32 v70, v1
	s_delay_alu instid0(VALU_DEP_2) | instskip(NEXT) | instid1(VALU_DEP_2)
	v_mad_co_u64_u32 v[71:72], null, s15, v71, v[68:69]
	v_lshlrev_b64_e32 v[68:69], 3, v[69:70]
	v_mov_b32_e32 v72, v1
	s_delay_alu instid0(VALU_DEP_2) | instskip(SKIP_1) | instid1(VALU_DEP_3)
	v_add_co_u32 v92, vcc_lo, s10, v68
	s_wait_alu 0xfffd
	v_add_co_ci_u32_e64 v93, null, s11, v69, vcc_lo
	s_wait_kmcnt 0x0
	v_mul_f64_e64 v[68:69], s[0:1], 0
	v_add_nc_u32_e32 v0, s15, v71
	v_lshlrev_b64_e32 v[72:73], 3, v[71:72]
	s_delay_alu instid0(VALU_DEP_2) | instskip(SKIP_1) | instid1(VALU_DEP_3)
	v_lshlrev_b64_e32 v[70:71], 3, v[0:1]
	v_add_nc_u32_e32 v0, s15, v0
	v_add_co_u32 v72, vcc_lo, v92, v72
	s_wait_alu 0xfffd
	s_delay_alu instid0(VALU_DEP_4) | instskip(NEXT) | instid1(VALU_DEP_3)
	v_add_co_ci_u32_e64 v73, null, v93, v73, vcc_lo
	v_lshlrev_b64_e32 v[74:75], 3, v[0:1]
	v_add_nc_u32_e32 v0, s15, v0
	v_add_co_u32 v70, vcc_lo, v92, v70
	s_wait_alu 0xfffd
	v_add_co_ci_u32_e64 v71, null, v93, v71, vcc_lo
	s_delay_alu instid0(VALU_DEP_3) | instskip(SKIP_4) | instid1(VALU_DEP_3)
	v_lshlrev_b64_e32 v[76:77], 3, v[0:1]
	v_add_nc_u32_e32 v0, s15, v0
	v_add_co_u32 v74, vcc_lo, v92, v74
	s_wait_alu 0xfffd
	v_add_co_ci_u32_e64 v75, null, v93, v75, vcc_lo
	v_lshlrev_b64_e32 v[78:79], 3, v[0:1]
	v_add_nc_u32_e32 v0, s15, v0
	v_add_co_u32 v76, vcc_lo, v92, v76
	s_wait_alu 0xfffd
	v_add_co_ci_u32_e64 v77, null, v93, v77, vcc_lo
	s_delay_alu instid0(VALU_DEP_3) | instskip(SKIP_4) | instid1(VALU_DEP_3)
	v_lshlrev_b64_e32 v[80:81], 3, v[0:1]
	v_add_nc_u32_e32 v0, s15, v0
	v_add_co_u32 v78, vcc_lo, v92, v78
	s_wait_alu 0xfffd
	v_add_co_ci_u32_e64 v79, null, v93, v79, vcc_lo
	v_lshlrev_b64_e32 v[82:83], 3, v[0:1]
	v_add_nc_u32_e32 v0, s15, v0
	v_fma_f64 v[2:3], s[2:3], v[3:4], v[68:69]
	v_fma_f64 v[4:5], s[2:3], v[5:6], v[68:69]
	s_wait_loadcnt 0xe
	v_fma_f64 v[6:7], s[2:3], v[8:9], v[68:69]
	v_fma_f64 v[8:9], s[2:3], v[10:11], v[68:69]
	v_lshlrev_b64_e32 v[84:85], 3, v[0:1]
	v_add_nc_u32_e32 v0, s15, v0
	s_wait_loadcnt 0xd
	v_fma_f64 v[10:11], s[2:3], v[12:13], v[68:69]
	v_fma_f64 v[12:13], s[2:3], v[14:15], v[68:69]
	v_add_co_u32 v80, vcc_lo, v92, v80
	v_lshlrev_b64_e32 v[86:87], 3, v[0:1]
	v_add_nc_u32_e32 v0, s15, v0
	s_wait_loadcnt 0xc
	v_fma_f64 v[14:15], s[2:3], v[16:17], v[68:69]
	v_fma_f64 v[16:17], s[2:3], v[18:19], v[68:69]
	s_wait_loadcnt 0xb
	v_fma_f64 v[18:19], s[2:3], v[20:21], v[68:69]
	v_fma_f64 v[20:21], s[2:3], v[22:23], v[68:69]
	s_wait_alu 0xfffd
	v_add_co_ci_u32_e64 v81, null, v93, v81, vcc_lo
	v_add_co_u32 v82, vcc_lo, v92, v82
	s_wait_loadcnt 0xa
	v_fma_f64 v[22:23], s[2:3], v[24:25], v[68:69]
	v_fma_f64 v[24:25], s[2:3], v[26:27], v[68:69]
	s_wait_loadcnt 0x9
	v_fma_f64 v[26:27], s[2:3], v[28:29], v[68:69]
	v_fma_f64 v[28:29], s[2:3], v[30:31], v[68:69]
	;; [unrolled: 3-line block ×6, first 2 shown]
	v_lshlrev_b64_e32 v[46:47], 3, v[0:1]
	s_wait_alu 0xfffd
	v_add_co_ci_u32_e64 v83, null, v93, v83, vcc_lo
	v_add_co_u32 v84, vcc_lo, v92, v84
	v_add_nc_u32_e32 v0, s15, v0
	s_wait_alu 0xfffd
	v_add_co_ci_u32_e64 v85, null, v93, v85, vcc_lo
	v_add_co_u32 v86, vcc_lo, v92, v86
	s_wait_alu 0xfffd
	v_add_co_ci_u32_e64 v87, null, v93, v87, vcc_lo
	v_add_co_u32 v88, vcc_lo, v92, v46
	s_wait_alu 0xfffd
	v_add_co_ci_u32_e64 v89, null, v93, v47, vcc_lo
	v_lshlrev_b64_e32 v[46:47], 3, v[0:1]
	global_store_b128 v[72:73], v[2:5], off
	s_wait_loadcnt 0x4
	v_fma_f64 v[2:3], s[2:3], v[48:49], v[68:69]
	v_fma_f64 v[4:5], s[2:3], v[50:51], v[68:69]
	s_wait_loadcnt 0x3
	v_fma_f64 v[48:49], s[2:3], v[54:55], v[68:69]
	s_wait_loadcnt 0x2
	v_fma_f64 v[50:51], s[2:3], v[56:57], v[68:69]
	v_add_co_u32 v90, vcc_lo, v92, v46
	s_wait_alu 0xfffd
	v_add_co_ci_u32_e64 v91, null, v93, v47, vcc_lo
	v_fma_f64 v[46:47], s[2:3], v[52:53], v[68:69]
	v_fma_f64 v[52:53], s[2:3], v[58:59], v[68:69]
	s_wait_loadcnt 0x1
	v_fma_f64 v[54:55], s[2:3], v[60:61], v[68:69]
	v_fma_f64 v[56:57], s[2:3], v[62:63], v[68:69]
	v_add_nc_u32_e32 v0, s15, v0
	s_wait_loadcnt 0x0
	v_fma_f64 v[58:59], s[2:3], v[64:65], v[68:69]
	v_fma_f64 v[60:61], s[2:3], v[66:67], v[68:69]
	s_clause 0x9
	global_store_b128 v[70:71], v[6:9], off
	global_store_b128 v[74:75], v[10:13], off
	;; [unrolled: 1-line block ×10, first 2 shown]
	v_lshlrev_b64_e32 v[72:73], 3, v[0:1]
	v_add_nc_u32_e32 v0, s15, v0
	s_delay_alu instid0(VALU_DEP_1) | instskip(SKIP_1) | instid1(VALU_DEP_4)
	v_lshlrev_b64_e32 v[62:63], 3, v[0:1]
	v_add_nc_u32_e32 v0, s15, v0
	v_add_co_u32 v64, vcc_lo, v92, v72
	s_wait_alu 0xfffd
	v_add_co_ci_u32_e64 v65, null, v93, v73, vcc_lo
	s_delay_alu instid0(VALU_DEP_3) | instskip(SKIP_4) | instid1(VALU_DEP_3)
	v_lshlrev_b64_e32 v[6:7], 3, v[0:1]
	v_add_nc_u32_e32 v0, s15, v0
	v_add_co_u32 v8, vcc_lo, v92, v62
	s_wait_alu 0xfffd
	v_add_co_ci_u32_e64 v9, null, v93, v63, vcc_lo
	v_lshlrev_b64_e32 v[10:11], 3, v[0:1]
	v_add_nc_u32_e32 v0, s15, v0
	v_add_co_u32 v6, vcc_lo, v92, v6
	s_wait_alu 0xfffd
	v_add_co_ci_u32_e64 v7, null, v93, v7, vcc_lo
	s_delay_alu instid0(VALU_DEP_3) | instskip(SKIP_3) | instid1(VALU_DEP_3)
	v_lshlrev_b64_e32 v[0:1], 3, v[0:1]
	v_add_co_u32 v10, vcc_lo, v92, v10
	s_wait_alu 0xfffd
	v_add_co_ci_u32_e64 v11, null, v93, v11, vcc_lo
	v_add_co_u32 v0, vcc_lo, v92, v0
	s_wait_alu 0xfffd
	v_add_co_ci_u32_e64 v1, null, v93, v1, vcc_lo
	s_clause 0x4
	global_store_b128 v[64:65], v[2:5], off
	global_store_b128 v[8:9], v[46:49], off
	;; [unrolled: 1-line block ×5, first 2 shown]
.LBB0_5:
	s_endpgm
	.section	.rodata,"a",@progbits
	.p2align	6, 0x0
	.amdhsa_kernel _Z14gemm_rocwmma_djjjPKdS0_S0_Pdjjjjdd
		.amdhsa_group_segment_fixed_size 0
		.amdhsa_private_segment_fixed_size 0
		.amdhsa_kernarg_size 80
		.amdhsa_user_sgpr_count 2
		.amdhsa_user_sgpr_dispatch_ptr 0
		.amdhsa_user_sgpr_queue_ptr 0
		.amdhsa_user_sgpr_kernarg_segment_ptr 1
		.amdhsa_user_sgpr_dispatch_id 0
		.amdhsa_user_sgpr_private_segment_size 0
		.amdhsa_wavefront_size32 1
		.amdhsa_uses_dynamic_stack 0
		.amdhsa_enable_private_segment 0
		.amdhsa_system_sgpr_workgroup_id_x 1
		.amdhsa_system_sgpr_workgroup_id_y 1
		.amdhsa_system_sgpr_workgroup_id_z 0
		.amdhsa_system_sgpr_workgroup_info 0
		.amdhsa_system_vgpr_workitem_id 1
		.amdhsa_next_free_vgpr 94
		.amdhsa_next_free_sgpr 24
		.amdhsa_reserve_vcc 1
		.amdhsa_float_round_mode_32 0
		.amdhsa_float_round_mode_16_64 0
		.amdhsa_float_denorm_mode_32 3
		.amdhsa_float_denorm_mode_16_64 3
		.amdhsa_fp16_overflow 0
		.amdhsa_workgroup_processor_mode 1
		.amdhsa_memory_ordered 1
		.amdhsa_forward_progress 1
		.amdhsa_inst_pref_size 22
		.amdhsa_round_robin_scheduling 0
		.amdhsa_exception_fp_ieee_invalid_op 0
		.amdhsa_exception_fp_denorm_src 0
		.amdhsa_exception_fp_ieee_div_zero 0
		.amdhsa_exception_fp_ieee_overflow 0
		.amdhsa_exception_fp_ieee_underflow 0
		.amdhsa_exception_fp_ieee_inexact 0
		.amdhsa_exception_int_div_zero 0
	.end_amdhsa_kernel
	.text
.Lfunc_end0:
	.size	_Z14gemm_rocwmma_djjjPKdS0_S0_Pdjjjjdd, .Lfunc_end0-_Z14gemm_rocwmma_djjjPKdS0_S0_Pdjjjjdd
                                        ; -- End function
	.set _Z14gemm_rocwmma_djjjPKdS0_S0_Pdjjjjdd.num_vgpr, 94
	.set _Z14gemm_rocwmma_djjjPKdS0_S0_Pdjjjjdd.num_agpr, 0
	.set _Z14gemm_rocwmma_djjjPKdS0_S0_Pdjjjjdd.numbered_sgpr, 24
	.set _Z14gemm_rocwmma_djjjPKdS0_S0_Pdjjjjdd.num_named_barrier, 0
	.set _Z14gemm_rocwmma_djjjPKdS0_S0_Pdjjjjdd.private_seg_size, 0
	.set _Z14gemm_rocwmma_djjjPKdS0_S0_Pdjjjjdd.uses_vcc, 1
	.set _Z14gemm_rocwmma_djjjPKdS0_S0_Pdjjjjdd.uses_flat_scratch, 0
	.set _Z14gemm_rocwmma_djjjPKdS0_S0_Pdjjjjdd.has_dyn_sized_stack, 0
	.set _Z14gemm_rocwmma_djjjPKdS0_S0_Pdjjjjdd.has_recursion, 0
	.set _Z14gemm_rocwmma_djjjPKdS0_S0_Pdjjjjdd.has_indirect_call, 0
	.section	.AMDGPU.csdata,"",@progbits
; Kernel info:
; codeLenInByte = 2728
; TotalNumSgprs: 26
; NumVgprs: 94
; ScratchSize: 0
; MemoryBound: 1
; FloatMode: 240
; IeeeMode: 1
; LDSByteSize: 0 bytes/workgroup (compile time only)
; SGPRBlocks: 0
; VGPRBlocks: 11
; NumSGPRsForWavesPerEU: 26
; NumVGPRsForWavesPerEU: 94
; Occupancy: 16
; WaveLimiterHint : 0
; COMPUTE_PGM_RSRC2:SCRATCH_EN: 0
; COMPUTE_PGM_RSRC2:USER_SGPR: 2
; COMPUTE_PGM_RSRC2:TRAP_HANDLER: 0
; COMPUTE_PGM_RSRC2:TGID_X_EN: 1
; COMPUTE_PGM_RSRC2:TGID_Y_EN: 1
; COMPUTE_PGM_RSRC2:TGID_Z_EN: 0
; COMPUTE_PGM_RSRC2:TIDIG_COMP_CNT: 1
	.text
	.p2alignl 7, 3214868480
	.fill 96, 4, 3214868480
	.section	.AMDGPU.gpr_maximums,"",@progbits
	.set amdgpu.max_num_vgpr, 0
	.set amdgpu.max_num_agpr, 0
	.set amdgpu.max_num_sgpr, 0
	.text
	.type	__hip_cuid_d00adc9680a1db4a,@object ; @__hip_cuid_d00adc9680a1db4a
	.section	.bss,"aw",@nobits
	.globl	__hip_cuid_d00adc9680a1db4a
__hip_cuid_d00adc9680a1db4a:
	.byte	0                               ; 0x0
	.size	__hip_cuid_d00adc9680a1db4a, 1

	.ident	"AMD clang version 22.0.0git (https://github.com/RadeonOpenCompute/llvm-project roc-7.2.4 26084 f58b06dce1f9c15707c5f808fd002e18c2accf7e)"
	.section	".note.GNU-stack","",@progbits
	.addrsig
	.addrsig_sym __hip_cuid_d00adc9680a1db4a
	.amdgpu_metadata
---
amdhsa.kernels:
  - .args:
      - .offset:         0
        .size:           4
        .value_kind:     by_value
      - .offset:         4
        .size:           4
        .value_kind:     by_value
      - .offset:         8
        .size:           4
        .value_kind:     by_value
      - .address_space:  global
        .offset:         16
        .size:           8
        .value_kind:     global_buffer
      - .address_space:  global
        .offset:         24
        .size:           8
        .value_kind:     global_buffer
      - .address_space:  global
        .offset:         32
        .size:           8
        .value_kind:     global_buffer
      - .address_space:  global
        .offset:         40
        .size:           8
        .value_kind:     global_buffer
      - .offset:         48
        .size:           4
        .value_kind:     by_value
      - .offset:         52
        .size:           4
        .value_kind:     by_value
      - .offset:         56
        .size:           4
        .value_kind:     by_value
      - .offset:         60
        .size:           4
        .value_kind:     by_value
      - .offset:         64
        .size:           8
        .value_kind:     by_value
      - .offset:         72
        .size:           8
        .value_kind:     by_value
    .group_segment_fixed_size: 0
    .kernarg_segment_align: 8
    .kernarg_segment_size: 80
    .language:       OpenCL C
    .language_version:
      - 2
      - 0
    .max_flat_workgroup_size: 256
    .name:           _Z14gemm_rocwmma_djjjPKdS0_S0_Pdjjjjdd
    .private_segment_fixed_size: 0
    .sgpr_count:     26
    .sgpr_spill_count: 0
    .symbol:         _Z14gemm_rocwmma_djjjPKdS0_S0_Pdjjjjdd.kd
    .uniform_work_group_size: 1
    .uses_dynamic_stack: false
    .vgpr_count:     94
    .vgpr_spill_count: 0
    .wavefront_size: 32
    .workgroup_processor_mode: 1
amdhsa.target:   amdgcn-amd-amdhsa--gfx1201
amdhsa.version:
  - 1
  - 2
...

	.end_amdgpu_metadata
